;; amdgpu-corpus repo=ROCm/hip-tests kind=compiled arch=gfx906 opt=O3
	.amdgcn_target "amdgcn-amd-amdhsa--gfx906"
	.amdhsa_code_object_version 6
	.section	.text._ZL25kernel_cg_grid_group_typePiS_S_S_P4dim3,"axG",@progbits,_ZL25kernel_cg_grid_group_typePiS_S_S_P4dim3,comdat
	.globl	_ZL25kernel_cg_grid_group_typePiS_S_S_P4dim3 ; -- Begin function _ZL25kernel_cg_grid_group_typePiS_S_S_P4dim3
	.p2align	8
	.type	_ZL25kernel_cg_grid_group_typePiS_S_S_P4dim3,@function
_ZL25kernel_cg_grid_group_typePiS_S_S_P4dim3: ; @_ZL25kernel_cg_grid_group_typePiS_S_S_P4dim3
; %bb.0:
	s_load_dword s0, s[4:5], 0x38
	s_load_dwordx2 s[2:3], s[4:5], 0x30
	s_load_dwordx4 s[20:23], s[4:5], 0x20
	s_add_u32 s1, s4, 40
	s_addc_u32 s9, s5, 0
	s_waitcnt lgkmcnt(0)
	s_and_b32 s24, s0, 0xffff
	s_lshr_b32 s25, s3, 16
	s_cmp_lt_u32 s6, s22
	s_cselect_b32 s0, 12, 18
	s_add_u32 s0, s1, s0
	s_addc_u32 s1, s9, 0
	v_mov_b32_e32 v3, 0
	global_load_ushort v9, v3, s[0:1]
	s_mul_i32 s9, s23, s2
	s_mul_i32 s1, s9, s24
	;; [unrolled: 1-line block ×5, first 2 shown]
	s_and_b32 s1, s3, 0xffff
	s_add_i32 s0, s0, s7
	s_mul_i32 s1, s6, s1
	s_mul_i32 s0, s0, s22
	v_add_u32_e32 v5, s1, v0
	s_add_i32 s0, s0, s6
	s_load_dwordx8 s[12:19], s[4:5], 0x0
	v_or_b32_e32 v3, s6, v0
	v_ashrrev_i32_e32 v6, 31, v5
	s_mul_i32 s0, s0, s24
	v_cmp_eq_u32_e64 s[10:11], 0, v3
	v_cmp_ne_u32_e32 vcc, 0, v3
	v_lshlrev_b64 v[3:4], 2, v[5:6]
	v_add_u32_e32 v6, s0, v2
	v_mad_u64_u32 v[6:7], s[0:1], v6, s25, v[1:2]
	s_waitcnt lgkmcnt(0)
	v_mov_b32_e32 v8, s13
	v_add_co_u32_e64 v7, s[0:1], s12, v3
	v_addc_co_u32_e64 v8, s[0:1], v8, v4, s[0:1]
	v_mov_b32_e32 v11, s15
	v_mov_b32_e32 v12, s17
	s_waitcnt vmcnt(0)
	v_mul_lo_u32 v13, s8, v9
	v_mad_u64_u32 v[9:10], s[0:1], v6, v9, v[0:1]
	v_add_co_u32_e64 v10, s[0:1], s14, v3
	v_addc_co_u32_e64 v11, s[0:1], v11, v4, s[0:1]
	global_store_dword v[7:8], v13, off
	global_store_dword v[10:11], v9, off
	s_load_dwordx2 s[4:5], s[4:5], 0x80
	v_add_co_u32_e64 v6, s[0:1], s16, v3
	v_addc_co_u32_e64 v7, s[0:1], v12, v4, s[0:1]
	s_waitcnt lgkmcnt(0)
	s_cmp_lg_u64 s[4:5], 0
	s_cselect_b64 s[0:1], -1, 0
	v_cndmask_b32_e64 v8, 0, 1, s[0:1]
	s_getpc_b64 s[0:1]
	s_add_u32 s0, s0, _ZL2gm.0@rel32@lo+4
	s_addc_u32 s1, s1, _ZL2gm.0@rel32@hi+12
	global_store_dword v[6:7], v8, off
	v_mov_b32_e32 v7, s1
	v_mov_b32_e32 v6, s0
	s_and_saveexec_b64 s[0:1], vcc
	s_cbranch_execz .LBB0_2
; %bb.1:
	s_cmp_eq_u32 s6, 1
	s_cselect_b64 s[4:5], -1, 0
	v_cmp_eq_u32_e32 vcc, 0, v0
	s_and_b64 s[4:5], s[4:5], vcc
	s_getpc_b64 s[6:7]
	s_add_u32 s6, s6, _ZL2gm.1@rel32@lo+4
	s_addc_u32 s7, s7, _ZL2gm.1@rel32@hi+12
	v_mov_b32_e32 v6, s6
	v_mov_b32_e32 v7, s7
	s_andn2_b64 s[6:7], s[10:11], exec
	s_and_b64 s[4:5], s[4:5], exec
	s_or_b64 s[10:11], s[6:7], s[4:5]
.LBB0_2:
	s_or_b64 exec, exec, s[0:1]
	s_and_saveexec_b64 s[0:1], s[10:11]
	s_cbranch_execz .LBB0_4
; %bb.3:
	v_mov_b32_e32 v8, 1
	global_store_byte v[6:7], v8, off
.LBB0_4:
	s_or_b64 exec, exec, s[0:1]
	v_or3_b32 v0, v0, v1, v2
	v_cmp_eq_u32_e32 vcc, 0, v0
	s_waitcnt vmcnt(0)
	s_barrier
	s_and_saveexec_b64 s[0:1], vcc
	s_cbranch_execz .LBB0_6
; %bb.5:
	s_mul_i32 s3, s9, s22
	s_add_i32 s3, s3, -1
	v_mov_b32_e32 v0, s3
	s_mov_b32 m0, 0
	s_nop 0
	ds_gws_barrier v0 gds
	s_waitcnt vmcnt(0) expcnt(0) lgkmcnt(0)
	buffer_wbinvl1_vol
.LBB0_6:
	s_or_b64 exec, exec, s[0:1]
	s_getpc_b64 s[0:1]
	s_add_u32 s0, s0, _ZL2gm.1@rel32@lo+4
	s_addc_u32 s1, s1, _ZL2gm.1@rel32@hi+12
	v_mov_b32_e32 v0, 0
	s_getpc_b64 s[4:5]
	s_add_u32 s4, s4, _ZL2gm.0@rel32@lo+4
	s_addc_u32 s5, s5, _ZL2gm.0@rel32@hi+12
	s_barrier
	global_load_ubyte v8, v0, s[0:1]
	global_load_ubyte v9, v0, s[4:5]
	v_mov_b32_e32 v6, s20
	v_mov_b32_e32 v7, s21
	v_mad_i64_i32 v[5:6], s[0:1], v5, 12, v[6:7]
	v_mov_b32_e32 v10, s19
	v_mov_b32_e32 v0, s22
	;; [unrolled: 1-line block ×4, first 2 shown]
	s_waitcnt vmcnt(1)
	v_and_b32_e32 v7, 1, v8
	s_waitcnt vmcnt(0)
	v_and_b32_e32 v8, 1, v9
	v_cmp_eq_u32_e32 vcc, 1, v7
	v_cndmask_b32_e64 v7, 0, 20, vcc
	v_cmp_eq_u32_e32 vcc, 1, v8
	v_cndmask_b32_e64 v8, 0, 10, vcc
	v_mul_lo_u32 v7, v8, v7
	v_add_co_u32_e32 v3, vcc, s18, v3
	v_addc_co_u32_e32 v4, vcc, v10, v4, vcc
	global_store_dword v[3:4], v7, off
	global_store_dwordx3 v[5:6], v[0:2], off
	s_endpgm
	.section	.rodata,"a",@progbits
	.p2align	6, 0x0
	.amdhsa_kernel _ZL25kernel_cg_grid_group_typePiS_S_S_P4dim3
		.amdhsa_group_segment_fixed_size 0
		.amdhsa_private_segment_fixed_size 0
		.amdhsa_kernarg_size 296
		.amdhsa_user_sgpr_count 6
		.amdhsa_user_sgpr_private_segment_buffer 1
		.amdhsa_user_sgpr_dispatch_ptr 0
		.amdhsa_user_sgpr_queue_ptr 0
		.amdhsa_user_sgpr_kernarg_segment_ptr 1
		.amdhsa_user_sgpr_dispatch_id 0
		.amdhsa_user_sgpr_flat_scratch_init 0
		.amdhsa_user_sgpr_private_segment_size 0
		.amdhsa_uses_dynamic_stack 0
		.amdhsa_system_sgpr_private_segment_wavefront_offset 0
		.amdhsa_system_sgpr_workgroup_id_x 1
		.amdhsa_system_sgpr_workgroup_id_y 1
		.amdhsa_system_sgpr_workgroup_id_z 1
		.amdhsa_system_sgpr_workgroup_info 0
		.amdhsa_system_vgpr_workitem_id 2
		.amdhsa_next_free_vgpr 14
		.amdhsa_next_free_sgpr 26
		.amdhsa_reserve_vcc 1
		.amdhsa_reserve_flat_scratch 0
		.amdhsa_float_round_mode_32 0
		.amdhsa_float_round_mode_16_64 0
		.amdhsa_float_denorm_mode_32 3
		.amdhsa_float_denorm_mode_16_64 3
		.amdhsa_dx10_clamp 1
		.amdhsa_ieee_mode 1
		.amdhsa_fp16_overflow 0
		.amdhsa_exception_fp_ieee_invalid_op 0
		.amdhsa_exception_fp_denorm_src 0
		.amdhsa_exception_fp_ieee_div_zero 0
		.amdhsa_exception_fp_ieee_overflow 0
		.amdhsa_exception_fp_ieee_underflow 0
		.amdhsa_exception_fp_ieee_inexact 0
		.amdhsa_exception_int_div_zero 0
	.end_amdhsa_kernel
	.section	.text._ZL25kernel_cg_grid_group_typePiS_S_S_P4dim3,"axG",@progbits,_ZL25kernel_cg_grid_group_typePiS_S_S_P4dim3,comdat
.Lfunc_end0:
	.size	_ZL25kernel_cg_grid_group_typePiS_S_S_P4dim3, .Lfunc_end0-_ZL25kernel_cg_grid_group_typePiS_S_S_P4dim3
                                        ; -- End function
	.set _ZL25kernel_cg_grid_group_typePiS_S_S_P4dim3.num_vgpr, 14
	.set _ZL25kernel_cg_grid_group_typePiS_S_S_P4dim3.num_agpr, 0
	.set _ZL25kernel_cg_grid_group_typePiS_S_S_P4dim3.numbered_sgpr, 26
	.set _ZL25kernel_cg_grid_group_typePiS_S_S_P4dim3.num_named_barrier, 0
	.set _ZL25kernel_cg_grid_group_typePiS_S_S_P4dim3.private_seg_size, 0
	.set _ZL25kernel_cg_grid_group_typePiS_S_S_P4dim3.uses_vcc, 1
	.set _ZL25kernel_cg_grid_group_typePiS_S_S_P4dim3.uses_flat_scratch, 0
	.set _ZL25kernel_cg_grid_group_typePiS_S_S_P4dim3.has_dyn_sized_stack, 0
	.set _ZL25kernel_cg_grid_group_typePiS_S_S_P4dim3.has_recursion, 0
	.set _ZL25kernel_cg_grid_group_typePiS_S_S_P4dim3.has_indirect_call, 0
	.section	.AMDGPU.csdata,"",@progbits
; Kernel info:
; codeLenInByte = 676
; TotalNumSgprs: 30
; NumVgprs: 14
; ScratchSize: 0
; MemoryBound: 0
; FloatMode: 240
; IeeeMode: 1
; LDSByteSize: 0 bytes/workgroup (compile time only)
; SGPRBlocks: 3
; VGPRBlocks: 3
; NumSGPRsForWavesPerEU: 30
; NumVGPRsForWavesPerEU: 14
; Occupancy: 10
; WaveLimiterHint : 0
; COMPUTE_PGM_RSRC2:SCRATCH_EN: 0
; COMPUTE_PGM_RSRC2:USER_SGPR: 6
; COMPUTE_PGM_RSRC2:TRAP_HANDLER: 0
; COMPUTE_PGM_RSRC2:TGID_X_EN: 1
; COMPUTE_PGM_RSRC2:TGID_Y_EN: 1
; COMPUTE_PGM_RSRC2:TGID_Z_EN: 1
; COMPUTE_PGM_RSRC2:TIDIG_COMP_CNT: 2
	.section	.text._ZL39kernel_cg_grid_group_type_via_base_typePiS_S_S_,"axG",@progbits,_ZL39kernel_cg_grid_group_type_via_base_typePiS_S_S_,comdat
	.globl	_ZL39kernel_cg_grid_group_type_via_base_typePiS_S_S_ ; -- Begin function _ZL39kernel_cg_grid_group_type_via_base_typePiS_S_S_
	.p2align	8
	.type	_ZL39kernel_cg_grid_group_type_via_base_typePiS_S_S_,@function
_ZL39kernel_cg_grid_group_type_via_base_typePiS_S_S_: ; @_ZL39kernel_cg_grid_group_type_via_base_typePiS_S_S_
; %bb.0:
	s_load_dword s0, s[4:5], 0x30
	s_load_dwordx4 s[20:23], s[4:5], 0x20
	s_add_u32 s1, s4, 32
	s_addc_u32 s2, s5, 0
	v_mov_b32_e32 v3, 0
	s_waitcnt lgkmcnt(0)
	s_and_b32 s10, s0, 0xffff
	s_lshr_b32 s11, s23, 16
	s_cmp_lt_u32 s6, s20
	s_cselect_b32 s0, 12, 18
	s_add_u32 s0, s1, s0
	s_addc_u32 s1, s2, 0
	global_load_ushort v8, v3, s[0:1]
	s_mul_i32 s9, s21, s22
	s_mul_i32 s0, s21, s8
	;; [unrolled: 1-line block ×3, first 2 shown]
	s_add_i32 s0, s0, s7
	s_mul_i32 s1, s1, s11
	s_mul_i32 s0, s0, s20
	;; [unrolled: 1-line block ×3, first 2 shown]
	s_and_b32 s1, s23, 0xffff
	s_add_i32 s0, s0, s6
	s_load_dwordx8 s[12:19], s[4:5], 0x0
	v_or_b32_e32 v3, s6, v0
	s_mul_i32 s1, s6, s1
	s_mul_i32 s0, s0, s10
	v_cmp_eq_u32_e64 s[2:3], 0, v3
	v_cmp_ne_u32_e32 vcc, 0, v3
	v_add_u32_e32 v3, s1, v0
	v_add_u32_e32 v5, s0, v2
	v_ashrrev_i32_e32 v4, 31, v3
	v_mad_u64_u32 v[5:6], s[0:1], v5, s11, v[1:2]
	v_lshlrev_b64 v[3:4], 2, v[3:4]
	s_waitcnt lgkmcnt(0)
	v_mov_b32_e32 v7, s13
	v_add_co_u32_e64 v6, s[0:1], s12, v3
	v_addc_co_u32_e64 v7, s[0:1], v7, v4, s[0:1]
	v_mov_b32_e32 v10, s15
	v_mov_b32_e32 v11, s17
	s_waitcnt vmcnt(0)
	v_mul_lo_u32 v12, s8, v8
	v_mad_u64_u32 v[8:9], s[0:1], v5, v8, v[0:1]
	v_add_co_u32_e64 v9, s[0:1], s14, v3
	v_addc_co_u32_e64 v10, s[0:1], v10, v4, s[0:1]
	global_store_dword v[6:7], v12, off
	global_store_dword v[9:10], v8, off
	s_load_dwordx2 s[4:5], s[4:5], 0x78
	v_add_co_u32_e64 v5, s[0:1], s16, v3
	v_addc_co_u32_e64 v6, s[0:1], v11, v4, s[0:1]
	s_waitcnt lgkmcnt(0)
	s_cmp_lg_u64 s[4:5], 0
	s_cselect_b64 s[0:1], -1, 0
	v_cndmask_b32_e64 v7, 0, 1, s[0:1]
	s_getpc_b64 s[0:1]
	s_add_u32 s0, s0, _ZL2gm.0@rel32@lo+4
	s_addc_u32 s1, s1, _ZL2gm.0@rel32@hi+12
	global_store_dword v[5:6], v7, off
	v_mov_b32_e32 v6, s1
	v_mov_b32_e32 v5, s0
	s_and_saveexec_b64 s[0:1], vcc
	s_cbranch_execz .LBB1_2
; %bb.1:
	s_cmp_eq_u32 s6, 1
	s_cselect_b64 s[4:5], -1, 0
	v_cmp_eq_u32_e32 vcc, 0, v0
	s_and_b64 s[4:5], s[4:5], vcc
	s_getpc_b64 s[6:7]
	s_add_u32 s6, s6, _ZL2gm.1@rel32@lo+4
	s_addc_u32 s7, s7, _ZL2gm.1@rel32@hi+12
	v_mov_b32_e32 v5, s6
	s_andn2_b64 s[2:3], s[2:3], exec
	s_and_b64 s[4:5], s[4:5], exec
	v_mov_b32_e32 v6, s7
	s_or_b64 s[2:3], s[2:3], s[4:5]
.LBB1_2:
	s_or_b64 exec, exec, s[0:1]
	s_and_saveexec_b64 s[0:1], s[2:3]
	s_cbranch_execz .LBB1_4
; %bb.3:
	v_mov_b32_e32 v7, 1
	global_store_byte v[5:6], v7, off
.LBB1_4:
	s_or_b64 exec, exec, s[0:1]
	v_or3_b32 v0, v1, v2, v0
	v_cmp_eq_u32_e32 vcc, 0, v0
	s_waitcnt vmcnt(0)
	s_barrier
	s_and_saveexec_b64 s[0:1], vcc
	s_cbranch_execz .LBB1_6
; %bb.5:
	s_mul_i32 s2, s9, s20
	s_add_i32 s2, s2, -1
	v_mov_b32_e32 v0, s2
	s_mov_b32 m0, 0
	s_nop 0
	ds_gws_barrier v0 gds
	s_waitcnt vmcnt(0) expcnt(0) lgkmcnt(0)
	buffer_wbinvl1_vol
.LBB1_6:
	s_or_b64 exec, exec, s[0:1]
	s_getpc_b64 s[0:1]
	s_add_u32 s0, s0, _ZL2gm.1@rel32@lo+4
	s_addc_u32 s1, s1, _ZL2gm.1@rel32@hi+12
	v_mov_b32_e32 v0, 0
	s_getpc_b64 s[2:3]
	s_add_u32 s2, s2, _ZL2gm.0@rel32@lo+4
	s_addc_u32 s3, s3, _ZL2gm.0@rel32@hi+12
	s_barrier
	global_load_ubyte v1, v0, s[0:1]
	global_load_ubyte v2, v0, s[2:3]
	v_mov_b32_e32 v5, s19
	s_waitcnt vmcnt(1)
	v_and_b32_e32 v0, 1, v1
	s_waitcnt vmcnt(0)
	v_and_b32_e32 v1, 1, v2
	v_cmp_eq_u32_e32 vcc, 1, v0
	v_cndmask_b32_e64 v0, 0, 20, vcc
	v_cmp_eq_u32_e32 vcc, 1, v1
	v_cndmask_b32_e64 v1, 0, 10, vcc
	v_mul_lo_u32 v2, v1, v0
	v_add_co_u32_e32 v0, vcc, s18, v3
	v_addc_co_u32_e32 v1, vcc, v5, v4, vcc
	global_store_dword v[0:1], v2, off
	s_endpgm
	.section	.rodata,"a",@progbits
	.p2align	6, 0x0
	.amdhsa_kernel _ZL39kernel_cg_grid_group_type_via_base_typePiS_S_S_
		.amdhsa_group_segment_fixed_size 0
		.amdhsa_private_segment_fixed_size 0
		.amdhsa_kernarg_size 288
		.amdhsa_user_sgpr_count 6
		.amdhsa_user_sgpr_private_segment_buffer 1
		.amdhsa_user_sgpr_dispatch_ptr 0
		.amdhsa_user_sgpr_queue_ptr 0
		.amdhsa_user_sgpr_kernarg_segment_ptr 1
		.amdhsa_user_sgpr_dispatch_id 0
		.amdhsa_user_sgpr_flat_scratch_init 0
		.amdhsa_user_sgpr_private_segment_size 0
		.amdhsa_uses_dynamic_stack 0
		.amdhsa_system_sgpr_private_segment_wavefront_offset 0
		.amdhsa_system_sgpr_workgroup_id_x 1
		.amdhsa_system_sgpr_workgroup_id_y 1
		.amdhsa_system_sgpr_workgroup_id_z 1
		.amdhsa_system_sgpr_workgroup_info 0
		.amdhsa_system_vgpr_workitem_id 2
		.amdhsa_next_free_vgpr 13
		.amdhsa_next_free_sgpr 24
		.amdhsa_reserve_vcc 1
		.amdhsa_reserve_flat_scratch 0
		.amdhsa_float_round_mode_32 0
		.amdhsa_float_round_mode_16_64 0
		.amdhsa_float_denorm_mode_32 3
		.amdhsa_float_denorm_mode_16_64 3
		.amdhsa_dx10_clamp 1
		.amdhsa_ieee_mode 1
		.amdhsa_fp16_overflow 0
		.amdhsa_exception_fp_ieee_invalid_op 0
		.amdhsa_exception_fp_denorm_src 0
		.amdhsa_exception_fp_ieee_div_zero 0
		.amdhsa_exception_fp_ieee_overflow 0
		.amdhsa_exception_fp_ieee_underflow 0
		.amdhsa_exception_fp_ieee_inexact 0
		.amdhsa_exception_int_div_zero 0
	.end_amdhsa_kernel
	.section	.text._ZL39kernel_cg_grid_group_type_via_base_typePiS_S_S_,"axG",@progbits,_ZL39kernel_cg_grid_group_type_via_base_typePiS_S_S_,comdat
.Lfunc_end1:
	.size	_ZL39kernel_cg_grid_group_type_via_base_typePiS_S_S_, .Lfunc_end1-_ZL39kernel_cg_grid_group_type_via_base_typePiS_S_S_
                                        ; -- End function
	.set _ZL39kernel_cg_grid_group_type_via_base_typePiS_S_S_.num_vgpr, 13
	.set _ZL39kernel_cg_grid_group_type_via_base_typePiS_S_S_.num_agpr, 0
	.set _ZL39kernel_cg_grid_group_type_via_base_typePiS_S_S_.numbered_sgpr, 24
	.set _ZL39kernel_cg_grid_group_type_via_base_typePiS_S_S_.num_named_barrier, 0
	.set _ZL39kernel_cg_grid_group_type_via_base_typePiS_S_S_.private_seg_size, 0
	.set _ZL39kernel_cg_grid_group_type_via_base_typePiS_S_S_.uses_vcc, 1
	.set _ZL39kernel_cg_grid_group_type_via_base_typePiS_S_S_.uses_flat_scratch, 0
	.set _ZL39kernel_cg_grid_group_type_via_base_typePiS_S_S_.has_dyn_sized_stack, 0
	.set _ZL39kernel_cg_grid_group_type_via_base_typePiS_S_S_.has_recursion, 0
	.set _ZL39kernel_cg_grid_group_type_via_base_typePiS_S_S_.has_indirect_call, 0
	.section	.AMDGPU.csdata,"",@progbits
; Kernel info:
; codeLenInByte = 632
; TotalNumSgprs: 28
; NumVgprs: 13
; ScratchSize: 0
; MemoryBound: 0
; FloatMode: 240
; IeeeMode: 1
; LDSByteSize: 0 bytes/workgroup (compile time only)
; SGPRBlocks: 3
; VGPRBlocks: 3
; NumSGPRsForWavesPerEU: 28
; NumVGPRsForWavesPerEU: 13
; Occupancy: 10
; WaveLimiterHint : 0
; COMPUTE_PGM_RSRC2:SCRATCH_EN: 0
; COMPUTE_PGM_RSRC2:USER_SGPR: 6
; COMPUTE_PGM_RSRC2:TRAP_HANDLER: 0
; COMPUTE_PGM_RSRC2:TGID_X_EN: 1
; COMPUTE_PGM_RSRC2:TGID_Y_EN: 1
; COMPUTE_PGM_RSRC2:TGID_Z_EN: 1
; COMPUTE_PGM_RSRC2:TIDIG_COMP_CNT: 2
	.section	.text._ZL40kernel_cg_grid_group_type_via_public_apiPiS_S_S_P4dim3,"axG",@progbits,_ZL40kernel_cg_grid_group_type_via_public_apiPiS_S_S_P4dim3,comdat
	.globl	_ZL40kernel_cg_grid_group_type_via_public_apiPiS_S_S_P4dim3 ; -- Begin function _ZL40kernel_cg_grid_group_type_via_public_apiPiS_S_S_P4dim3
	.p2align	8
	.type	_ZL40kernel_cg_grid_group_type_via_public_apiPiS_S_S_P4dim3,@function
_ZL40kernel_cg_grid_group_type_via_public_apiPiS_S_S_P4dim3: ; @_ZL40kernel_cg_grid_group_type_via_public_apiPiS_S_S_P4dim3
; %bb.0:
	s_load_dword s0, s[4:5], 0x38
	s_load_dwordx2 s[2:3], s[4:5], 0x30
	s_load_dwordx4 s[20:23], s[4:5], 0x20
	s_add_u32 s1, s4, 40
	s_addc_u32 s9, s5, 0
	s_waitcnt lgkmcnt(0)
	s_and_b32 s24, s0, 0xffff
	s_lshr_b32 s25, s3, 16
	s_cmp_lt_u32 s6, s22
	s_cselect_b32 s0, 12, 18
	s_add_u32 s0, s1, s0
	s_addc_u32 s1, s9, 0
	v_mov_b32_e32 v3, 0
	global_load_ushort v9, v3, s[0:1]
	s_mul_i32 s9, s23, s2
	s_mul_i32 s1, s9, s24
	;; [unrolled: 1-line block ×5, first 2 shown]
	s_and_b32 s1, s3, 0xffff
	s_add_i32 s0, s0, s7
	s_mul_i32 s1, s6, s1
	s_mul_i32 s0, s0, s22
	v_add_u32_e32 v5, s1, v0
	s_add_i32 s0, s0, s6
	s_load_dwordx8 s[12:19], s[4:5], 0x0
	v_or_b32_e32 v3, s6, v0
	v_ashrrev_i32_e32 v6, 31, v5
	s_mul_i32 s0, s0, s24
	v_cmp_eq_u32_e64 s[10:11], 0, v3
	v_cmp_ne_u32_e32 vcc, 0, v3
	v_lshlrev_b64 v[3:4], 2, v[5:6]
	v_add_u32_e32 v6, s0, v2
	v_mad_u64_u32 v[6:7], s[0:1], v6, s25, v[1:2]
	s_waitcnt lgkmcnt(0)
	v_mov_b32_e32 v8, s13
	v_add_co_u32_e64 v7, s[0:1], s12, v3
	v_addc_co_u32_e64 v8, s[0:1], v8, v4, s[0:1]
	v_mov_b32_e32 v11, s15
	v_mov_b32_e32 v12, s17
	s_waitcnt vmcnt(0)
	v_mul_lo_u32 v13, s8, v9
	v_mad_u64_u32 v[9:10], s[0:1], v6, v9, v[0:1]
	v_add_co_u32_e64 v10, s[0:1], s14, v3
	v_addc_co_u32_e64 v11, s[0:1], v11, v4, s[0:1]
	global_store_dword v[7:8], v13, off
	global_store_dword v[10:11], v9, off
	s_load_dwordx2 s[4:5], s[4:5], 0x80
	v_add_co_u32_e64 v6, s[0:1], s16, v3
	v_addc_co_u32_e64 v7, s[0:1], v12, v4, s[0:1]
	s_waitcnt lgkmcnt(0)
	s_cmp_lg_u64 s[4:5], 0
	s_cselect_b64 s[0:1], -1, 0
	v_cndmask_b32_e64 v8, 0, 1, s[0:1]
	s_getpc_b64 s[0:1]
	s_add_u32 s0, s0, _ZL2gm.0@rel32@lo+4
	s_addc_u32 s1, s1, _ZL2gm.0@rel32@hi+12
	global_store_dword v[6:7], v8, off
	v_mov_b32_e32 v7, s1
	v_mov_b32_e32 v6, s0
	s_and_saveexec_b64 s[0:1], vcc
	s_cbranch_execz .LBB2_2
; %bb.1:
	s_cmp_eq_u32 s6, 1
	s_cselect_b64 s[4:5], -1, 0
	v_cmp_eq_u32_e32 vcc, 0, v0
	s_and_b64 s[4:5], s[4:5], vcc
	s_getpc_b64 s[6:7]
	s_add_u32 s6, s6, _ZL2gm.1@rel32@lo+4
	s_addc_u32 s7, s7, _ZL2gm.1@rel32@hi+12
	v_mov_b32_e32 v6, s6
	v_mov_b32_e32 v7, s7
	s_andn2_b64 s[6:7], s[10:11], exec
	s_and_b64 s[4:5], s[4:5], exec
	s_or_b64 s[10:11], s[6:7], s[4:5]
.LBB2_2:
	s_or_b64 exec, exec, s[0:1]
	s_and_saveexec_b64 s[0:1], s[10:11]
	s_cbranch_execz .LBB2_4
; %bb.3:
	v_mov_b32_e32 v8, 1
	global_store_byte v[6:7], v8, off
.LBB2_4:
	s_or_b64 exec, exec, s[0:1]
	v_or3_b32 v0, v0, v1, v2
	v_cmp_eq_u32_e32 vcc, 0, v0
	s_waitcnt vmcnt(0)
	s_barrier
	s_and_saveexec_b64 s[0:1], vcc
	s_cbranch_execz .LBB2_6
; %bb.5:
	s_mul_i32 s3, s9, s22
	s_add_i32 s3, s3, -1
	v_mov_b32_e32 v0, s3
	s_mov_b32 m0, 0
	s_nop 0
	ds_gws_barrier v0 gds
	s_waitcnt vmcnt(0) expcnt(0) lgkmcnt(0)
	buffer_wbinvl1_vol
.LBB2_6:
	s_or_b64 exec, exec, s[0:1]
	s_getpc_b64 s[0:1]
	s_add_u32 s0, s0, _ZL2gm.1@rel32@lo+4
	s_addc_u32 s1, s1, _ZL2gm.1@rel32@hi+12
	v_mov_b32_e32 v0, 0
	s_getpc_b64 s[4:5]
	s_add_u32 s4, s4, _ZL2gm.0@rel32@lo+4
	s_addc_u32 s5, s5, _ZL2gm.0@rel32@hi+12
	s_barrier
	global_load_ubyte v8, v0, s[0:1]
	global_load_ubyte v9, v0, s[4:5]
	v_mov_b32_e32 v6, s20
	v_mov_b32_e32 v7, s21
	v_mad_i64_i32 v[5:6], s[0:1], v5, 12, v[6:7]
	v_mov_b32_e32 v10, s19
	v_mov_b32_e32 v0, s22
	;; [unrolled: 1-line block ×4, first 2 shown]
	s_waitcnt vmcnt(1)
	v_and_b32_e32 v7, 1, v8
	s_waitcnt vmcnt(0)
	v_and_b32_e32 v8, 1, v9
	v_cmp_eq_u32_e32 vcc, 1, v7
	v_cndmask_b32_e64 v7, 0, 20, vcc
	v_cmp_eq_u32_e32 vcc, 1, v8
	v_cndmask_b32_e64 v8, 0, 10, vcc
	v_mul_lo_u32 v7, v8, v7
	v_add_co_u32_e32 v3, vcc, s18, v3
	v_addc_co_u32_e32 v4, vcc, v10, v4, vcc
	global_store_dword v[3:4], v7, off
	global_store_dwordx3 v[5:6], v[0:2], off
	s_endpgm
	.section	.rodata,"a",@progbits
	.p2align	6, 0x0
	.amdhsa_kernel _ZL40kernel_cg_grid_group_type_via_public_apiPiS_S_S_P4dim3
		.amdhsa_group_segment_fixed_size 0
		.amdhsa_private_segment_fixed_size 0
		.amdhsa_kernarg_size 296
		.amdhsa_user_sgpr_count 6
		.amdhsa_user_sgpr_private_segment_buffer 1
		.amdhsa_user_sgpr_dispatch_ptr 0
		.amdhsa_user_sgpr_queue_ptr 0
		.amdhsa_user_sgpr_kernarg_segment_ptr 1
		.amdhsa_user_sgpr_dispatch_id 0
		.amdhsa_user_sgpr_flat_scratch_init 0
		.amdhsa_user_sgpr_private_segment_size 0
		.amdhsa_uses_dynamic_stack 0
		.amdhsa_system_sgpr_private_segment_wavefront_offset 0
		.amdhsa_system_sgpr_workgroup_id_x 1
		.amdhsa_system_sgpr_workgroup_id_y 1
		.amdhsa_system_sgpr_workgroup_id_z 1
		.amdhsa_system_sgpr_workgroup_info 0
		.amdhsa_system_vgpr_workitem_id 2
		.amdhsa_next_free_vgpr 14
		.amdhsa_next_free_sgpr 26
		.amdhsa_reserve_vcc 1
		.amdhsa_reserve_flat_scratch 0
		.amdhsa_float_round_mode_32 0
		.amdhsa_float_round_mode_16_64 0
		.amdhsa_float_denorm_mode_32 3
		.amdhsa_float_denorm_mode_16_64 3
		.amdhsa_dx10_clamp 1
		.amdhsa_ieee_mode 1
		.amdhsa_fp16_overflow 0
		.amdhsa_exception_fp_ieee_invalid_op 0
		.amdhsa_exception_fp_denorm_src 0
		.amdhsa_exception_fp_ieee_div_zero 0
		.amdhsa_exception_fp_ieee_overflow 0
		.amdhsa_exception_fp_ieee_underflow 0
		.amdhsa_exception_fp_ieee_inexact 0
		.amdhsa_exception_int_div_zero 0
	.end_amdhsa_kernel
	.section	.text._ZL40kernel_cg_grid_group_type_via_public_apiPiS_S_S_P4dim3,"axG",@progbits,_ZL40kernel_cg_grid_group_type_via_public_apiPiS_S_S_P4dim3,comdat
.Lfunc_end2:
	.size	_ZL40kernel_cg_grid_group_type_via_public_apiPiS_S_S_P4dim3, .Lfunc_end2-_ZL40kernel_cg_grid_group_type_via_public_apiPiS_S_S_P4dim3
                                        ; -- End function
	.set _ZL40kernel_cg_grid_group_type_via_public_apiPiS_S_S_P4dim3.num_vgpr, 14
	.set _ZL40kernel_cg_grid_group_type_via_public_apiPiS_S_S_P4dim3.num_agpr, 0
	.set _ZL40kernel_cg_grid_group_type_via_public_apiPiS_S_S_P4dim3.numbered_sgpr, 26
	.set _ZL40kernel_cg_grid_group_type_via_public_apiPiS_S_S_P4dim3.num_named_barrier, 0
	.set _ZL40kernel_cg_grid_group_type_via_public_apiPiS_S_S_P4dim3.private_seg_size, 0
	.set _ZL40kernel_cg_grid_group_type_via_public_apiPiS_S_S_P4dim3.uses_vcc, 1
	.set _ZL40kernel_cg_grid_group_type_via_public_apiPiS_S_S_P4dim3.uses_flat_scratch, 0
	.set _ZL40kernel_cg_grid_group_type_via_public_apiPiS_S_S_P4dim3.has_dyn_sized_stack, 0
	.set _ZL40kernel_cg_grid_group_type_via_public_apiPiS_S_S_P4dim3.has_recursion, 0
	.set _ZL40kernel_cg_grid_group_type_via_public_apiPiS_S_S_P4dim3.has_indirect_call, 0
	.section	.AMDGPU.csdata,"",@progbits
; Kernel info:
; codeLenInByte = 676
; TotalNumSgprs: 30
; NumVgprs: 14
; ScratchSize: 0
; MemoryBound: 0
; FloatMode: 240
; IeeeMode: 1
; LDSByteSize: 0 bytes/workgroup (compile time only)
; SGPRBlocks: 3
; VGPRBlocks: 3
; NumSGPRsForWavesPerEU: 30
; NumVGPRsForWavesPerEU: 14
; Occupancy: 10
; WaveLimiterHint : 0
; COMPUTE_PGM_RSRC2:SCRATCH_EN: 0
; COMPUTE_PGM_RSRC2:USER_SGPR: 6
; COMPUTE_PGM_RSRC2:TRAP_HANDLER: 0
; COMPUTE_PGM_RSRC2:TGID_X_EN: 1
; COMPUTE_PGM_RSRC2:TGID_Y_EN: 1
; COMPUTE_PGM_RSRC2:TGID_Z_EN: 1
; COMPUTE_PGM_RSRC2:TIDIG_COMP_CNT: 2
	.section	.text._ZL11coop_kernelPjS_jj,"axG",@progbits,_ZL11coop_kernelPjS_jj,comdat
	.globl	_ZL11coop_kernelPjS_jj          ; -- Begin function _ZL11coop_kernelPjS_jj
	.p2align	8
	.type	_ZL11coop_kernelPjS_jj,@function
_ZL11coop_kernelPjS_jj:                 ; @_ZL11coop_kernelPjS_jj
; %bb.0:
	s_load_dwordx2 s[10:11], s[4:5], 0x10
	s_mov_b32 s14, 0
	s_waitcnt lgkmcnt(0)
	s_cmp_eq_u32 s10, 0
	s_cbranch_scc1 .LBB3_13
; %bb.1:
	v_mov_b32_e32 v3, 0
	global_load_dword v4, v3, s[4:5] offset:38
	s_load_dwordx2 s[2:3], s[4:5], 0x18
	s_add_u32 s0, s4, 24
	s_addc_u32 s1, s5, 0
	s_mov_b32 m0, 0
	s_waitcnt lgkmcnt(0)
	s_cmp_lt_u32 s6, s2
	s_cselect_b32 s9, 12, 18
	s_add_u32 s0, s0, s9
	s_addc_u32 s1, s1, 0
	global_load_ushort v6, v3, s[0:1]
	s_load_dword s0, s[4:5], 0x20
	s_mul_i32 s1, s3, s8
	s_add_i32 s1, s1, s7
	s_waitcnt lgkmcnt(0)
	s_mul_i32 s3, s3, s0
	s_mul_i32 s0, s1, s2
	s_add_i32 s0, s0, s6
	s_load_dwordx4 s[4:7], s[4:5], 0x0
	s_mul_i32 s15, s3, s2
	s_add_i32 s15, s15, -1
	s_waitcnt vmcnt(1)
	v_lshrrev_b32_e32 v5, 16, v4
	v_mul_lo_u32 v7, s3, v5
	v_mul_lo_u32 v5, s0, v5
	v_and_b32_e32 v4, 0xffff, v4
	v_mul_lo_u32 v7, v7, v4
	v_add_u32_e32 v5, v5, v2
	v_mad_u64_u32 v[4:5], s[0:1], v5, v4, v[1:2]
	v_mul_lo_u32 v7, v7, s2
	s_waitcnt vmcnt(0)
	v_mad_u64_u32 v[4:5], s[0:1], v4, v6, v[0:1]
	v_mul_lo_u32 v5, v7, v6
	v_or3_b32 v0, v0, v1, v2
	v_cmp_eq_u32_e32 vcc, 0, v0
	v_cmp_gt_u32_e64 s[0:1], s11, v4
	v_xad_u32 v6, v4, -1, s11
	s_branch .LBB3_3
.LBB3_2:                                ;   in Loop: Header=BB3_3 Depth=1
	s_or_b64 exec, exec, s[2:3]
	s_add_i32 s14, s14, 1
	s_cmp_eq_u32 s14, s10
	s_barrier
	s_cbranch_scc1 .LBB3_13
.LBB3_3:                                ; =>This Loop Header: Depth=1
                                        ;     Child Loop BB3_5 Depth 2
                                        ;     Child Loop BB3_10 Depth 2
	s_and_saveexec_b64 s[8:9], s[0:1]
	s_cbranch_execz .LBB3_6
; %bb.4:                                ;   in Loop: Header=BB3_3 Depth=1
	s_mov_b64 s[12:13], 0
	v_mov_b32_e32 v0, v4
.LBB3_5:                                ;   Parent Loop BB3_3 Depth=1
                                        ; =>  This Inner Loop Header: Depth=2
	v_ashrrev_i32_e32 v1, 31, v0
	v_lshlrev_b64 v[1:2], 2, v[0:1]
	s_waitcnt lgkmcnt(0)
	v_mov_b32_e32 v8, s5
	v_add_co_u32_e64 v7, s[2:3], s4, v1
	v_addc_co_u32_e64 v8, s[2:3], v8, v2, s[2:3]
	global_load_dword v7, v[7:8], off
	v_mov_b32_e32 v8, s7
	v_add_co_u32_e64 v1, s[2:3], s6, v1
	v_addc_co_u32_e64 v2, s[2:3], v8, v2, s[2:3]
	global_load_dword v8, v[1:2], off
	v_add_u32_e32 v0, v0, v5
	v_cmp_le_u32_e64 s[2:3], s11, v0
	s_or_b64 s[12:13], s[2:3], s[12:13]
	s_waitcnt vmcnt(0)
	v_add_u32_e32 v7, v8, v7
	global_store_dword v[1:2], v7, off
	s_andn2_b64 exec, exec, s[12:13]
	s_cbranch_execnz .LBB3_5
.LBB3_6:                                ;   in Loop: Header=BB3_3 Depth=1
	s_or_b64 exec, exec, s[8:9]
	s_waitcnt vmcnt(0) lgkmcnt(0)
	s_barrier
	s_and_saveexec_b64 s[2:3], vcc
	s_cbranch_execz .LBB3_8
; %bb.7:                                ;   in Loop: Header=BB3_3 Depth=1
	v_mov_b32_e32 v0, s15
	ds_gws_barrier v0 gds
	s_waitcnt vmcnt(0) expcnt(0) lgkmcnt(0)
	buffer_wbinvl1_vol
.LBB3_8:                                ;   in Loop: Header=BB3_3 Depth=1
	s_or_b64 exec, exec, s[2:3]
	s_barrier
	s_and_saveexec_b64 s[8:9], s[0:1]
	s_cbranch_execz .LBB3_11
; %bb.9:                                ;   in Loop: Header=BB3_3 Depth=1
	s_mov_b64 s[12:13], 0
	v_mov_b32_e32 v2, v6
	v_mov_b32_e32 v0, v4
.LBB3_10:                               ;   Parent Loop BB3_3 Depth=1
                                        ; =>  This Inner Loop Header: Depth=2
	v_lshlrev_b64 v[7:8], 2, v[2:3]
	v_ashrrev_i32_e32 v1, 31, v0
	v_mov_b32_e32 v11, s7
	v_lshlrev_b64 v[9:10], 2, v[0:1]
	v_add_co_u32_e64 v7, s[2:3], s6, v7
	v_addc_co_u32_e64 v8, s[2:3], v11, v8, s[2:3]
	v_mov_b32_e32 v12, s5
	global_load_dword v1, v[7:8], off
	v_add_co_u32_e64 v7, s[2:3], s4, v9
	v_addc_co_u32_e64 v8, s[2:3], v12, v10, s[2:3]
	global_load_dword v9, v[7:8], off
	v_add_u32_e32 v0, v0, v5
	v_cmp_le_u32_e64 s[2:3], s11, v0
	v_sub_u32_e32 v2, v2, v5
	s_or_b64 s[12:13], s[2:3], s[12:13]
	s_waitcnt vmcnt(0)
	v_add_u32_e32 v1, v9, v1
	global_store_dword v[7:8], v1, off
	s_andn2_b64 exec, exec, s[12:13]
	s_cbranch_execnz .LBB3_10
.LBB3_11:                               ;   in Loop: Header=BB3_3 Depth=1
	s_or_b64 exec, exec, s[8:9]
	s_waitcnt vmcnt(0)
	s_barrier
	s_and_saveexec_b64 s[2:3], vcc
	s_cbranch_execz .LBB3_2
; %bb.12:                               ;   in Loop: Header=BB3_3 Depth=1
	v_mov_b32_e32 v0, s15
	ds_gws_barrier v0 gds
	s_waitcnt vmcnt(0) expcnt(0) lgkmcnt(0)
	buffer_wbinvl1_vol
	s_branch .LBB3_2
.LBB3_13:
	s_endpgm
	.section	.rodata,"a",@progbits
	.p2align	6, 0x0
	.amdhsa_kernel _ZL11coop_kernelPjS_jj
		.amdhsa_group_segment_fixed_size 0
		.amdhsa_private_segment_fixed_size 0
		.amdhsa_kernarg_size 280
		.amdhsa_user_sgpr_count 6
		.amdhsa_user_sgpr_private_segment_buffer 1
		.amdhsa_user_sgpr_dispatch_ptr 0
		.amdhsa_user_sgpr_queue_ptr 0
		.amdhsa_user_sgpr_kernarg_segment_ptr 1
		.amdhsa_user_sgpr_dispatch_id 0
		.amdhsa_user_sgpr_flat_scratch_init 0
		.amdhsa_user_sgpr_private_segment_size 0
		.amdhsa_uses_dynamic_stack 0
		.amdhsa_system_sgpr_private_segment_wavefront_offset 0
		.amdhsa_system_sgpr_workgroup_id_x 1
		.amdhsa_system_sgpr_workgroup_id_y 1
		.amdhsa_system_sgpr_workgroup_id_z 1
		.amdhsa_system_sgpr_workgroup_info 0
		.amdhsa_system_vgpr_workitem_id 2
		.amdhsa_next_free_vgpr 13
		.amdhsa_next_free_sgpr 16
		.amdhsa_reserve_vcc 1
		.amdhsa_reserve_flat_scratch 0
		.amdhsa_float_round_mode_32 0
		.amdhsa_float_round_mode_16_64 0
		.amdhsa_float_denorm_mode_32 3
		.amdhsa_float_denorm_mode_16_64 3
		.amdhsa_dx10_clamp 1
		.amdhsa_ieee_mode 1
		.amdhsa_fp16_overflow 0
		.amdhsa_exception_fp_ieee_invalid_op 0
		.amdhsa_exception_fp_denorm_src 0
		.amdhsa_exception_fp_ieee_div_zero 0
		.amdhsa_exception_fp_ieee_overflow 0
		.amdhsa_exception_fp_ieee_underflow 0
		.amdhsa_exception_fp_ieee_inexact 0
		.amdhsa_exception_int_div_zero 0
	.end_amdhsa_kernel
	.section	.text._ZL11coop_kernelPjS_jj,"axG",@progbits,_ZL11coop_kernelPjS_jj,comdat
.Lfunc_end3:
	.size	_ZL11coop_kernelPjS_jj, .Lfunc_end3-_ZL11coop_kernelPjS_jj
                                        ; -- End function
	.set _ZL11coop_kernelPjS_jj.num_vgpr, 13
	.set _ZL11coop_kernelPjS_jj.num_agpr, 0
	.set _ZL11coop_kernelPjS_jj.numbered_sgpr, 16
	.set _ZL11coop_kernelPjS_jj.num_named_barrier, 0
	.set _ZL11coop_kernelPjS_jj.private_seg_size, 0
	.set _ZL11coop_kernelPjS_jj.uses_vcc, 1
	.set _ZL11coop_kernelPjS_jj.uses_flat_scratch, 0
	.set _ZL11coop_kernelPjS_jj.has_dyn_sized_stack, 0
	.set _ZL11coop_kernelPjS_jj.has_recursion, 0
	.set _ZL11coop_kernelPjS_jj.has_indirect_call, 0
	.section	.AMDGPU.csdata,"",@progbits
; Kernel info:
; codeLenInByte = 636
; TotalNumSgprs: 20
; NumVgprs: 13
; ScratchSize: 0
; MemoryBound: 0
; FloatMode: 240
; IeeeMode: 1
; LDSByteSize: 0 bytes/workgroup (compile time only)
; SGPRBlocks: 2
; VGPRBlocks: 3
; NumSGPRsForWavesPerEU: 20
; NumVGPRsForWavesPerEU: 13
; Occupancy: 10
; WaveLimiterHint : 0
; COMPUTE_PGM_RSRC2:SCRATCH_EN: 0
; COMPUTE_PGM_RSRC2:USER_SGPR: 6
; COMPUTE_PGM_RSRC2:TRAP_HANDLER: 0
; COMPUTE_PGM_RSRC2:TGID_X_EN: 1
; COMPUTE_PGM_RSRC2:TGID_Y_EN: 1
; COMPUTE_PGM_RSRC2:TGID_Z_EN: 1
; COMPUTE_PGM_RSRC2:TIDIG_COMP_CNT: 2
	.section	.text._ZL11test_kernelPjS_j,"axG",@progbits,_ZL11test_kernelPjS_j,comdat
	.globl	_ZL11test_kernelPjS_j           ; -- Begin function _ZL11test_kernelPjS_j
	.p2align	8
	.type	_ZL11test_kernelPjS_j,@function
_ZL11test_kernelPjS_j:                  ; @_ZL11test_kernelPjS_j
; %bb.0:
	s_load_dword s18, s[4:5], 0x10
	s_mov_b32 s19, 0
	s_waitcnt lgkmcnt(0)
	s_cmp_eq_u32 s18, 0
	s_cbranch_scc1 .LBB4_10
; %bb.1:
	v_mov_b32_e32 v5, 0
	global_load_dword v3, v5, s[4:5] offset:38
	s_load_dword s20, s[4:5], 0x18
	s_add_u32 s0, s4, 24
	s_addc_u32 s1, s5, 0
	v_or3_b32 v10, v0, v1, v2
	s_mov_b32 m0, 0
	s_waitcnt lgkmcnt(0)
	s_cmp_lt_u32 s6, s20
	s_cselect_b32 s2, 12, 18
	s_add_u32 s0, s0, s2
	s_addc_u32 s1, s1, 0
	global_load_ushort v6, v5, s[0:1]
	s_load_dwordx2 s[2:3], s[4:5], 0x1c
	s_load_dwordx4 s[12:15], s[4:5], 0x0
	v_cmp_eq_u32_e64 s[0:1], 0, v0
	s_waitcnt lgkmcnt(0)
	s_mul_i32 s4, s2, s8
	s_mul_i32 s8, s2, s3
	s_add_i32 s2, s4, s7
	s_mul_i32 s2, s2, s20
	s_add_i32 s2, s2, s6
	s_mul_i32 s21, s8, s20
	s_add_i32 s21, s21, -1
	s_waitcnt vmcnt(1)
	v_lshrrev_b32_e32 v4, 16, v3
	v_mul_lo_u32 v7, s8, v4
	v_and_b32_e32 v8, 0xffff, v3
	v_mul_lo_u32 v9, s2, v4
	v_mov_b32_e32 v3, 0xf4240
	v_mul_lo_u32 v7, v7, v8
	v_mov_b32_e32 v4, 0
	v_add_u32_e32 v2, v9, v2
	v_mad_u64_u32 v[1:2], s[2:3], v2, v8, v[1:2]
	v_mul_lo_u32 v7, v7, s20
	v_cmp_eq_u32_e64 s[2:3], 0, v10
	s_waitcnt vmcnt(0)
	v_mad_u64_u32 v[0:1], s[4:5], v1, v6, v[0:1]
	v_mul_lo_u32 v2, v7, v6
	v_add_u32_e32 v1, -1, v2
	v_cmp_eq_u32_e64 s[4:5], v0, v1
	v_mov_b32_e32 v0, -1
	s_branch .LBB4_3
.LBB4_2:                                ;   in Loop: Header=BB4_3 Depth=1
	s_or_b64 exec, exec, s[8:9]
	s_add_i32 s6, s6, s20
	s_add_i32 s19, s19, 1
	s_cmp_eq_u32 s19, s18
	s_barrier
	s_cbranch_scc1 .LBB4_10
.LBB4_3:                                ; =>This Loop Header: Depth=1
                                        ;     Child Loop BB4_5 Depth 2
	s_and_saveexec_b64 s[8:9], s[4:5]
	s_cbranch_execz .LBB4_6
; %bb.4:                                ;   in Loop: Header=BB4_3 Depth=1
	s_memtime s[16:17]
	s_mov_b64 s[10:11], 0
.LBB4_5:                                ;   Parent Loop BB4_3 Depth=1
                                        ; =>  This Inner Loop Header: Depth=2
	s_memtime s[22:23]
	s_waitcnt lgkmcnt(0)
	v_mov_b32_e32 v1, s16
	v_mov_b32_e32 v2, s17
	v_cmp_gt_i64_e32 vcc, s[22:23], v[1:2]
	s_sub_u32 s7, s22, s16
	s_subb_u32 s24, s23, s17
	s_and_b64 s[16:17], vcc, exec
	s_cselect_b32 s7, s7, 0
	s_cselect_b32 s16, s24, 0
	s_add_u32 s10, s7, s10
	s_addc_u32 s11, s16, s11
	v_cmp_lt_i64_e32 vcc, s[10:11], v[3:4]
	s_mov_b64 s[16:17], s[22:23]
	s_cbranch_vccnz .LBB4_5
.LBB4_6:                                ;   in Loop: Header=BB4_3 Depth=1
	s_or_b64 exec, exec, s[8:9]
	s_and_saveexec_b64 s[8:9], s[0:1]
	s_cbranch_execz .LBB4_8
; %bb.7:                                ;   in Loop: Header=BB4_3 Depth=1
	global_atomic_inc v1, v5, v0, s[12:13] glc
	s_ashr_i32 s7, s6, 31
	s_lshl_b64 s[10:11], s[6:7], 2
	s_add_u32 s10, s14, s10
	s_addc_u32 s11, s15, s11
	s_waitcnt vmcnt(0)
	global_store_dword v5, v1, s[10:11]
.LBB4_8:                                ;   in Loop: Header=BB4_3 Depth=1
	s_or_b64 exec, exec, s[8:9]
	s_waitcnt vmcnt(0)
	s_barrier
	s_and_saveexec_b64 s[8:9], s[2:3]
	s_cbranch_execz .LBB4_2
; %bb.9:                                ;   in Loop: Header=BB4_3 Depth=1
	v_mov_b32_e32 v1, s21
	ds_gws_barrier v1 gds
	s_waitcnt vmcnt(0) expcnt(0) lgkmcnt(0)
	buffer_wbinvl1_vol
	s_branch .LBB4_2
.LBB4_10:
	s_endpgm
	.section	.rodata,"a",@progbits
	.p2align	6, 0x0
	.amdhsa_kernel _ZL11test_kernelPjS_j
		.amdhsa_group_segment_fixed_size 0
		.amdhsa_private_segment_fixed_size 0
		.amdhsa_kernarg_size 280
		.amdhsa_user_sgpr_count 6
		.amdhsa_user_sgpr_private_segment_buffer 1
		.amdhsa_user_sgpr_dispatch_ptr 0
		.amdhsa_user_sgpr_queue_ptr 0
		.amdhsa_user_sgpr_kernarg_segment_ptr 1
		.amdhsa_user_sgpr_dispatch_id 0
		.amdhsa_user_sgpr_flat_scratch_init 0
		.amdhsa_user_sgpr_private_segment_size 0
		.amdhsa_uses_dynamic_stack 0
		.amdhsa_system_sgpr_private_segment_wavefront_offset 0
		.amdhsa_system_sgpr_workgroup_id_x 1
		.amdhsa_system_sgpr_workgroup_id_y 1
		.amdhsa_system_sgpr_workgroup_id_z 1
		.amdhsa_system_sgpr_workgroup_info 0
		.amdhsa_system_vgpr_workitem_id 2
		.amdhsa_next_free_vgpr 11
		.amdhsa_next_free_sgpr 25
		.amdhsa_reserve_vcc 1
		.amdhsa_reserve_flat_scratch 0
		.amdhsa_float_round_mode_32 0
		.amdhsa_float_round_mode_16_64 0
		.amdhsa_float_denorm_mode_32 3
		.amdhsa_float_denorm_mode_16_64 3
		.amdhsa_dx10_clamp 1
		.amdhsa_ieee_mode 1
		.amdhsa_fp16_overflow 0
		.amdhsa_exception_fp_ieee_invalid_op 0
		.amdhsa_exception_fp_denorm_src 0
		.amdhsa_exception_fp_ieee_div_zero 0
		.amdhsa_exception_fp_ieee_overflow 0
		.amdhsa_exception_fp_ieee_underflow 0
		.amdhsa_exception_fp_ieee_inexact 0
		.amdhsa_exception_int_div_zero 0
	.end_amdhsa_kernel
	.section	.text._ZL11test_kernelPjS_j,"axG",@progbits,_ZL11test_kernelPjS_j,comdat
.Lfunc_end4:
	.size	_ZL11test_kernelPjS_j, .Lfunc_end4-_ZL11test_kernelPjS_j
                                        ; -- End function
	.set _ZL11test_kernelPjS_j.num_vgpr, 11
	.set _ZL11test_kernelPjS_j.num_agpr, 0
	.set _ZL11test_kernelPjS_j.numbered_sgpr, 25
	.set _ZL11test_kernelPjS_j.num_named_barrier, 0
	.set _ZL11test_kernelPjS_j.private_seg_size, 0
	.set _ZL11test_kernelPjS_j.uses_vcc, 1
	.set _ZL11test_kernelPjS_j.uses_flat_scratch, 0
	.set _ZL11test_kernelPjS_j.has_dyn_sized_stack, 0
	.set _ZL11test_kernelPjS_j.has_recursion, 0
	.set _ZL11test_kernelPjS_j.has_indirect_call, 0
	.section	.AMDGPU.csdata,"",@progbits
; Kernel info:
; codeLenInByte = 476
; TotalNumSgprs: 29
; NumVgprs: 11
; ScratchSize: 0
; MemoryBound: 0
; FloatMode: 240
; IeeeMode: 1
; LDSByteSize: 0 bytes/workgroup (compile time only)
; SGPRBlocks: 3
; VGPRBlocks: 2
; NumSGPRsForWavesPerEU: 29
; NumVGPRsForWavesPerEU: 11
; Occupancy: 10
; WaveLimiterHint : 0
; COMPUTE_PGM_RSRC2:SCRATCH_EN: 0
; COMPUTE_PGM_RSRC2:USER_SGPR: 6
; COMPUTE_PGM_RSRC2:TRAP_HANDLER: 0
; COMPUTE_PGM_RSRC2:TGID_X_EN: 1
; COMPUTE_PGM_RSRC2:TGID_Y_EN: 1
; COMPUTE_PGM_RSRC2:TGID_Z_EN: 1
; COMPUTE_PGM_RSRC2:TIDIG_COMP_CNT: 2
	.text
	.protected	_Z17test_kernel_gfx11PjS_j ; -- Begin function _Z17test_kernel_gfx11PjS_j
	.globl	_Z17test_kernel_gfx11PjS_j
	.p2align	8
	.type	_Z17test_kernel_gfx11PjS_j,@function
_Z17test_kernel_gfx11PjS_j:             ; @_Z17test_kernel_gfx11PjS_j
; %bb.0:
	s_load_dword s18, s[4:5], 0x10
	s_mov_b32 s19, 0
	s_waitcnt lgkmcnt(0)
	s_cmp_eq_u32 s18, 0
	s_cbranch_scc1 .LBB5_10
; %bb.1:
	v_mov_b32_e32 v5, 0
	global_load_dword v3, v5, s[4:5] offset:38
	s_load_dword s20, s[4:5], 0x18
	s_add_u32 s0, s4, 24
	s_addc_u32 s1, s5, 0
	v_or3_b32 v10, v0, v1, v2
	s_mov_b32 m0, 0
	s_waitcnt lgkmcnt(0)
	s_cmp_lt_u32 s6, s20
	s_cselect_b32 s2, 12, 18
	s_add_u32 s0, s0, s2
	s_addc_u32 s1, s1, 0
	global_load_ushort v6, v5, s[0:1]
	s_load_dwordx2 s[2:3], s[4:5], 0x1c
	s_load_dwordx4 s[12:15], s[4:5], 0x0
	v_cmp_eq_u32_e64 s[0:1], 0, v0
	s_waitcnt lgkmcnt(0)
	s_mul_i32 s4, s2, s8
	s_mul_i32 s8, s2, s3
	s_add_i32 s2, s4, s7
	s_mul_i32 s2, s2, s20
	s_add_i32 s2, s2, s6
	s_mul_i32 s21, s8, s20
	s_add_i32 s21, s21, -1
	s_waitcnt vmcnt(1)
	v_lshrrev_b32_e32 v4, 16, v3
	v_mul_lo_u32 v7, s8, v4
	v_and_b32_e32 v8, 0xffff, v3
	v_mul_lo_u32 v9, s2, v4
	v_mov_b32_e32 v3, 0xf4240
	v_mul_lo_u32 v7, v7, v8
	v_mov_b32_e32 v4, 0
	v_add_u32_e32 v2, v9, v2
	v_mad_u64_u32 v[1:2], s[2:3], v2, v8, v[1:2]
	v_mul_lo_u32 v7, v7, s20
	v_cmp_eq_u32_e64 s[2:3], 0, v10
	s_waitcnt vmcnt(0)
	v_mad_u64_u32 v[0:1], s[4:5], v1, v6, v[0:1]
	v_mul_lo_u32 v2, v7, v6
	v_add_u32_e32 v1, -1, v2
	v_cmp_eq_u32_e64 s[4:5], v0, v1
	v_mov_b32_e32 v0, -1
	s_branch .LBB5_3
.LBB5_2:                                ;   in Loop: Header=BB5_3 Depth=1
	s_or_b64 exec, exec, s[8:9]
	s_add_i32 s6, s6, s20
	s_add_i32 s19, s19, 1
	s_cmp_eq_u32 s19, s18
	s_barrier
	s_cbranch_scc1 .LBB5_10
.LBB5_3:                                ; =>This Loop Header: Depth=1
                                        ;     Child Loop BB5_5 Depth 2
	s_and_saveexec_b64 s[8:9], s[4:5]
	s_cbranch_execz .LBB5_6
; %bb.4:                                ;   in Loop: Header=BB5_3 Depth=1
	s_memrealtime s[16:17]
	s_mov_b64 s[10:11], 0
.LBB5_5:                                ;   Parent Loop BB5_3 Depth=1
                                        ; =>  This Inner Loop Header: Depth=2
	s_memrealtime s[22:23]
	s_waitcnt lgkmcnt(0)
	v_mov_b32_e32 v1, s16
	v_mov_b32_e32 v2, s17
	v_cmp_gt_i64_e32 vcc, s[22:23], v[1:2]
	s_sub_u32 s7, s22, s16
	s_subb_u32 s24, s23, s17
	s_and_b64 s[16:17], vcc, exec
	s_cselect_b32 s7, s7, 0
	s_cselect_b32 s16, s24, 0
	s_add_u32 s10, s7, s10
	s_addc_u32 s11, s16, s11
	v_cmp_lt_i64_e32 vcc, s[10:11], v[3:4]
	s_mov_b64 s[16:17], s[22:23]
	s_cbranch_vccnz .LBB5_5
.LBB5_6:                                ;   in Loop: Header=BB5_3 Depth=1
	s_or_b64 exec, exec, s[8:9]
	s_and_saveexec_b64 s[8:9], s[0:1]
	s_cbranch_execz .LBB5_8
; %bb.7:                                ;   in Loop: Header=BB5_3 Depth=1
	global_atomic_inc v1, v5, v0, s[12:13] glc
	s_ashr_i32 s7, s6, 31
	s_lshl_b64 s[10:11], s[6:7], 2
	s_add_u32 s10, s14, s10
	s_addc_u32 s11, s15, s11
	s_waitcnt vmcnt(0)
	global_store_dword v5, v1, s[10:11]
.LBB5_8:                                ;   in Loop: Header=BB5_3 Depth=1
	s_or_b64 exec, exec, s[8:9]
	s_waitcnt vmcnt(0)
	s_barrier
	s_and_saveexec_b64 s[8:9], s[2:3]
	s_cbranch_execz .LBB5_2
; %bb.9:                                ;   in Loop: Header=BB5_3 Depth=1
	v_mov_b32_e32 v1, s21
	ds_gws_barrier v1 gds
	s_waitcnt vmcnt(0) expcnt(0) lgkmcnt(0)
	buffer_wbinvl1_vol
	s_branch .LBB5_2
.LBB5_10:
	s_endpgm
	.section	.rodata,"a",@progbits
	.p2align	6, 0x0
	.amdhsa_kernel _Z17test_kernel_gfx11PjS_j
		.amdhsa_group_segment_fixed_size 0
		.amdhsa_private_segment_fixed_size 0
		.amdhsa_kernarg_size 280
		.amdhsa_user_sgpr_count 6
		.amdhsa_user_sgpr_private_segment_buffer 1
		.amdhsa_user_sgpr_dispatch_ptr 0
		.amdhsa_user_sgpr_queue_ptr 0
		.amdhsa_user_sgpr_kernarg_segment_ptr 1
		.amdhsa_user_sgpr_dispatch_id 0
		.amdhsa_user_sgpr_flat_scratch_init 0
		.amdhsa_user_sgpr_private_segment_size 0
		.amdhsa_uses_dynamic_stack 0
		.amdhsa_system_sgpr_private_segment_wavefront_offset 0
		.amdhsa_system_sgpr_workgroup_id_x 1
		.amdhsa_system_sgpr_workgroup_id_y 1
		.amdhsa_system_sgpr_workgroup_id_z 1
		.amdhsa_system_sgpr_workgroup_info 0
		.amdhsa_system_vgpr_workitem_id 2
		.amdhsa_next_free_vgpr 11
		.amdhsa_next_free_sgpr 25
		.amdhsa_reserve_vcc 1
		.amdhsa_reserve_flat_scratch 0
		.amdhsa_float_round_mode_32 0
		.amdhsa_float_round_mode_16_64 0
		.amdhsa_float_denorm_mode_32 3
		.amdhsa_float_denorm_mode_16_64 3
		.amdhsa_dx10_clamp 1
		.amdhsa_ieee_mode 1
		.amdhsa_fp16_overflow 0
		.amdhsa_exception_fp_ieee_invalid_op 0
		.amdhsa_exception_fp_denorm_src 0
		.amdhsa_exception_fp_ieee_div_zero 0
		.amdhsa_exception_fp_ieee_overflow 0
		.amdhsa_exception_fp_ieee_underflow 0
		.amdhsa_exception_fp_ieee_inexact 0
		.amdhsa_exception_int_div_zero 0
	.end_amdhsa_kernel
	.text
.Lfunc_end5:
	.size	_Z17test_kernel_gfx11PjS_j, .Lfunc_end5-_Z17test_kernel_gfx11PjS_j
                                        ; -- End function
	.set _Z17test_kernel_gfx11PjS_j.num_vgpr, 11
	.set _Z17test_kernel_gfx11PjS_j.num_agpr, 0
	.set _Z17test_kernel_gfx11PjS_j.numbered_sgpr, 25
	.set _Z17test_kernel_gfx11PjS_j.num_named_barrier, 0
	.set _Z17test_kernel_gfx11PjS_j.private_seg_size, 0
	.set _Z17test_kernel_gfx11PjS_j.uses_vcc, 1
	.set _Z17test_kernel_gfx11PjS_j.uses_flat_scratch, 0
	.set _Z17test_kernel_gfx11PjS_j.has_dyn_sized_stack, 0
	.set _Z17test_kernel_gfx11PjS_j.has_recursion, 0
	.set _Z17test_kernel_gfx11PjS_j.has_indirect_call, 0
	.section	.AMDGPU.csdata,"",@progbits
; Kernel info:
; codeLenInByte = 476
; TotalNumSgprs: 29
; NumVgprs: 11
; ScratchSize: 0
; MemoryBound: 0
; FloatMode: 240
; IeeeMode: 1
; LDSByteSize: 0 bytes/workgroup (compile time only)
; SGPRBlocks: 3
; VGPRBlocks: 2
; NumSGPRsForWavesPerEU: 29
; NumVGPRsForWavesPerEU: 11
; Occupancy: 10
; WaveLimiterHint : 0
; COMPUTE_PGM_RSRC2:SCRATCH_EN: 0
; COMPUTE_PGM_RSRC2:USER_SGPR: 6
; COMPUTE_PGM_RSRC2:TRAP_HANDLER: 0
; COMPUTE_PGM_RSRC2:TGID_X_EN: 1
; COMPUTE_PGM_RSRC2:TGID_Y_EN: 1
; COMPUTE_PGM_RSRC2:TGID_Z_EN: 1
; COMPUTE_PGM_RSRC2:TIDIG_COMP_CNT: 2
	.section	.AMDGPU.gpr_maximums,"",@progbits
	.set amdgpu.max_num_vgpr, 0
	.set amdgpu.max_num_agpr, 0
	.set amdgpu.max_num_sgpr, 0
	.section	.AMDGPU.csdata,"",@progbits
	.type	_ZL2gm.0,@object                ; @_ZL2gm.0
	.local	_ZL2gm.0
	.comm	_ZL2gm.0,1,2
	.type	_ZL2gm.1,@object                ; @_ZL2gm.1
	.local	_ZL2gm.1
	.comm	_ZL2gm.1,1,2
	.type	__hip_cuid_3da7bbc6a065cb84,@object ; @__hip_cuid_3da7bbc6a065cb84
	.section	.bss,"aw",@nobits
	.globl	__hip_cuid_3da7bbc6a065cb84
__hip_cuid_3da7bbc6a065cb84:
	.byte	0                               ; 0x0
	.size	__hip_cuid_3da7bbc6a065cb84, 1

	.ident	"AMD clang version 22.0.0git (https://github.com/RadeonOpenCompute/llvm-project roc-7.2.4 26084 f58b06dce1f9c15707c5f808fd002e18c2accf7e)"
	.section	".note.GNU-stack","",@progbits
	.addrsig
	.addrsig_sym __hip_cuid_3da7bbc6a065cb84
	.amdgpu_metadata
---
amdhsa.kernels:
  - .args:
      - .address_space:  global
        .offset:         0
        .size:           8
        .value_kind:     global_buffer
      - .address_space:  global
        .offset:         8
        .size:           8
        .value_kind:     global_buffer
      - .address_space:  global
        .offset:         16
        .size:           8
        .value_kind:     global_buffer
      - .address_space:  global
        .offset:         24
        .size:           8
        .value_kind:     global_buffer
      - .address_space:  global
        .offset:         32
        .size:           8
        .value_kind:     global_buffer
      - .offset:         40
        .size:           4
        .value_kind:     hidden_block_count_x
      - .offset:         44
        .size:           4
        .value_kind:     hidden_block_count_y
      - .offset:         48
        .size:           4
        .value_kind:     hidden_block_count_z
      - .offset:         52
        .size:           2
        .value_kind:     hidden_group_size_x
      - .offset:         54
        .size:           2
        .value_kind:     hidden_group_size_y
      - .offset:         56
        .size:           2
        .value_kind:     hidden_group_size_z
      - .offset:         58
        .size:           2
        .value_kind:     hidden_remainder_x
      - .offset:         60
        .size:           2
        .value_kind:     hidden_remainder_y
      - .offset:         62
        .size:           2
        .value_kind:     hidden_remainder_z
      - .offset:         80
        .size:           8
        .value_kind:     hidden_global_offset_x
      - .offset:         88
        .size:           8
        .value_kind:     hidden_global_offset_y
      - .offset:         96
        .size:           8
        .value_kind:     hidden_global_offset_z
      - .offset:         104
        .size:           2
        .value_kind:     hidden_grid_dims
      - .offset:         128
        .size:           8
        .value_kind:     hidden_multigrid_sync_arg
    .group_segment_fixed_size: 0
    .kernarg_segment_align: 8
    .kernarg_segment_size: 296
    .language:       OpenCL C
    .language_version:
      - 2
      - 0
    .max_flat_workgroup_size: 1024
    .name:           _ZL25kernel_cg_grid_group_typePiS_S_S_P4dim3
    .private_segment_fixed_size: 0
    .sgpr_count:     30
    .sgpr_spill_count: 0
    .symbol:         _ZL25kernel_cg_grid_group_typePiS_S_S_P4dim3.kd
    .uniform_work_group_size: 1
    .uses_dynamic_stack: false
    .vgpr_count:     14
    .vgpr_spill_count: 0
    .wavefront_size: 64
  - .args:
      - .address_space:  global
        .offset:         0
        .size:           8
        .value_kind:     global_buffer
      - .address_space:  global
        .offset:         8
        .size:           8
        .value_kind:     global_buffer
      - .address_space:  global
        .offset:         16
        .size:           8
        .value_kind:     global_buffer
      - .address_space:  global
        .offset:         24
        .size:           8
        .value_kind:     global_buffer
      - .offset:         32
        .size:           4
        .value_kind:     hidden_block_count_x
      - .offset:         36
        .size:           4
        .value_kind:     hidden_block_count_y
      - .offset:         40
        .size:           4
        .value_kind:     hidden_block_count_z
      - .offset:         44
        .size:           2
        .value_kind:     hidden_group_size_x
      - .offset:         46
        .size:           2
        .value_kind:     hidden_group_size_y
      - .offset:         48
        .size:           2
        .value_kind:     hidden_group_size_z
      - .offset:         50
        .size:           2
        .value_kind:     hidden_remainder_x
      - .offset:         52
        .size:           2
        .value_kind:     hidden_remainder_y
      - .offset:         54
        .size:           2
        .value_kind:     hidden_remainder_z
      - .offset:         72
        .size:           8
        .value_kind:     hidden_global_offset_x
      - .offset:         80
        .size:           8
        .value_kind:     hidden_global_offset_y
      - .offset:         88
        .size:           8
        .value_kind:     hidden_global_offset_z
      - .offset:         96
        .size:           2
        .value_kind:     hidden_grid_dims
      - .offset:         120
        .size:           8
        .value_kind:     hidden_multigrid_sync_arg
    .group_segment_fixed_size: 0
    .kernarg_segment_align: 8
    .kernarg_segment_size: 288
    .language:       OpenCL C
    .language_version:
      - 2
      - 0
    .max_flat_workgroup_size: 1024
    .name:           _ZL39kernel_cg_grid_group_type_via_base_typePiS_S_S_
    .private_segment_fixed_size: 0
    .sgpr_count:     28
    .sgpr_spill_count: 0
    .symbol:         _ZL39kernel_cg_grid_group_type_via_base_typePiS_S_S_.kd
    .uniform_work_group_size: 1
    .uses_dynamic_stack: false
    .vgpr_count:     13
    .vgpr_spill_count: 0
    .wavefront_size: 64
  - .args:
      - .address_space:  global
        .offset:         0
        .size:           8
        .value_kind:     global_buffer
      - .address_space:  global
        .offset:         8
        .size:           8
        .value_kind:     global_buffer
      - .address_space:  global
        .offset:         16
        .size:           8
        .value_kind:     global_buffer
      - .address_space:  global
        .offset:         24
        .size:           8
        .value_kind:     global_buffer
      - .address_space:  global
        .offset:         32
        .size:           8
        .value_kind:     global_buffer
      - .offset:         40
        .size:           4
        .value_kind:     hidden_block_count_x
      - .offset:         44
        .size:           4
        .value_kind:     hidden_block_count_y
      - .offset:         48
        .size:           4
        .value_kind:     hidden_block_count_z
      - .offset:         52
        .size:           2
        .value_kind:     hidden_group_size_x
      - .offset:         54
        .size:           2
        .value_kind:     hidden_group_size_y
      - .offset:         56
        .size:           2
        .value_kind:     hidden_group_size_z
      - .offset:         58
        .size:           2
        .value_kind:     hidden_remainder_x
      - .offset:         60
        .size:           2
        .value_kind:     hidden_remainder_y
      - .offset:         62
        .size:           2
        .value_kind:     hidden_remainder_z
      - .offset:         80
        .size:           8
        .value_kind:     hidden_global_offset_x
      - .offset:         88
        .size:           8
        .value_kind:     hidden_global_offset_y
      - .offset:         96
        .size:           8
        .value_kind:     hidden_global_offset_z
      - .offset:         104
        .size:           2
        .value_kind:     hidden_grid_dims
      - .offset:         128
        .size:           8
        .value_kind:     hidden_multigrid_sync_arg
    .group_segment_fixed_size: 0
    .kernarg_segment_align: 8
    .kernarg_segment_size: 296
    .language:       OpenCL C
    .language_version:
      - 2
      - 0
    .max_flat_workgroup_size: 1024
    .name:           _ZL40kernel_cg_grid_group_type_via_public_apiPiS_S_S_P4dim3
    .private_segment_fixed_size: 0
    .sgpr_count:     30
    .sgpr_spill_count: 0
    .symbol:         _ZL40kernel_cg_grid_group_type_via_public_apiPiS_S_S_P4dim3.kd
    .uniform_work_group_size: 1
    .uses_dynamic_stack: false
    .vgpr_count:     14
    .vgpr_spill_count: 0
    .wavefront_size: 64
  - .args:
      - .address_space:  global
        .offset:         0
        .size:           8
        .value_kind:     global_buffer
      - .address_space:  global
        .offset:         8
        .size:           8
        .value_kind:     global_buffer
      - .offset:         16
        .size:           4
        .value_kind:     by_value
      - .offset:         20
        .size:           4
        .value_kind:     by_value
      - .offset:         24
        .size:           4
        .value_kind:     hidden_block_count_x
      - .offset:         28
        .size:           4
        .value_kind:     hidden_block_count_y
      - .offset:         32
        .size:           4
        .value_kind:     hidden_block_count_z
      - .offset:         36
        .size:           2
        .value_kind:     hidden_group_size_x
      - .offset:         38
        .size:           2
        .value_kind:     hidden_group_size_y
      - .offset:         40
        .size:           2
        .value_kind:     hidden_group_size_z
      - .offset:         42
        .size:           2
        .value_kind:     hidden_remainder_x
      - .offset:         44
        .size:           2
        .value_kind:     hidden_remainder_y
      - .offset:         46
        .size:           2
        .value_kind:     hidden_remainder_z
      - .offset:         64
        .size:           8
        .value_kind:     hidden_global_offset_x
      - .offset:         72
        .size:           8
        .value_kind:     hidden_global_offset_y
      - .offset:         80
        .size:           8
        .value_kind:     hidden_global_offset_z
      - .offset:         88
        .size:           2
        .value_kind:     hidden_grid_dims
    .group_segment_fixed_size: 0
    .kernarg_segment_align: 8
    .kernarg_segment_size: 280
    .language:       OpenCL C
    .language_version:
      - 2
      - 0
    .max_flat_workgroup_size: 1024
    .name:           _ZL11coop_kernelPjS_jj
    .private_segment_fixed_size: 0
    .sgpr_count:     20
    .sgpr_spill_count: 0
    .symbol:         _ZL11coop_kernelPjS_jj.kd
    .uniform_work_group_size: 1
    .uses_dynamic_stack: false
    .vgpr_count:     13
    .vgpr_spill_count: 0
    .wavefront_size: 64
  - .args:
      - .address_space:  global
        .offset:         0
        .size:           8
        .value_kind:     global_buffer
      - .address_space:  global
        .offset:         8
        .size:           8
        .value_kind:     global_buffer
      - .offset:         16
        .size:           4
        .value_kind:     by_value
      - .offset:         24
        .size:           4
        .value_kind:     hidden_block_count_x
      - .offset:         28
        .size:           4
        .value_kind:     hidden_block_count_y
      - .offset:         32
        .size:           4
        .value_kind:     hidden_block_count_z
      - .offset:         36
        .size:           2
        .value_kind:     hidden_group_size_x
      - .offset:         38
        .size:           2
        .value_kind:     hidden_group_size_y
      - .offset:         40
        .size:           2
        .value_kind:     hidden_group_size_z
      - .offset:         42
        .size:           2
        .value_kind:     hidden_remainder_x
      - .offset:         44
        .size:           2
        .value_kind:     hidden_remainder_y
      - .offset:         46
        .size:           2
        .value_kind:     hidden_remainder_z
      - .offset:         64
        .size:           8
        .value_kind:     hidden_global_offset_x
      - .offset:         72
        .size:           8
        .value_kind:     hidden_global_offset_y
      - .offset:         80
        .size:           8
        .value_kind:     hidden_global_offset_z
      - .offset:         88
        .size:           2
        .value_kind:     hidden_grid_dims
    .group_segment_fixed_size: 0
    .kernarg_segment_align: 8
    .kernarg_segment_size: 280
    .language:       OpenCL C
    .language_version:
      - 2
      - 0
    .max_flat_workgroup_size: 1024
    .name:           _ZL11test_kernelPjS_j
    .private_segment_fixed_size: 0
    .sgpr_count:     29
    .sgpr_spill_count: 0
    .symbol:         _ZL11test_kernelPjS_j.kd
    .uniform_work_group_size: 1
    .uses_dynamic_stack: false
    .vgpr_count:     11
    .vgpr_spill_count: 0
    .wavefront_size: 64
  - .args:
      - .address_space:  global
        .offset:         0
        .size:           8
        .value_kind:     global_buffer
      - .address_space:  global
        .offset:         8
        .size:           8
        .value_kind:     global_buffer
      - .offset:         16
        .size:           4
        .value_kind:     by_value
      - .offset:         24
        .size:           4
        .value_kind:     hidden_block_count_x
      - .offset:         28
        .size:           4
        .value_kind:     hidden_block_count_y
      - .offset:         32
        .size:           4
        .value_kind:     hidden_block_count_z
      - .offset:         36
        .size:           2
        .value_kind:     hidden_group_size_x
      - .offset:         38
        .size:           2
        .value_kind:     hidden_group_size_y
      - .offset:         40
        .size:           2
        .value_kind:     hidden_group_size_z
      - .offset:         42
        .size:           2
        .value_kind:     hidden_remainder_x
      - .offset:         44
        .size:           2
        .value_kind:     hidden_remainder_y
      - .offset:         46
        .size:           2
        .value_kind:     hidden_remainder_z
      - .offset:         64
        .size:           8
        .value_kind:     hidden_global_offset_x
      - .offset:         72
        .size:           8
        .value_kind:     hidden_global_offset_y
      - .offset:         80
        .size:           8
        .value_kind:     hidden_global_offset_z
      - .offset:         88
        .size:           2
        .value_kind:     hidden_grid_dims
    .group_segment_fixed_size: 0
    .kernarg_segment_align: 8
    .kernarg_segment_size: 280
    .language:       OpenCL C
    .language_version:
      - 2
      - 0
    .max_flat_workgroup_size: 1024
    .name:           _Z17test_kernel_gfx11PjS_j
    .private_segment_fixed_size: 0
    .sgpr_count:     29
    .sgpr_spill_count: 0
    .symbol:         _Z17test_kernel_gfx11PjS_j.kd
    .uniform_work_group_size: 1
    .uses_dynamic_stack: false
    .vgpr_count:     11
    .vgpr_spill_count: 0
    .wavefront_size: 64
amdhsa.target:   amdgcn-amd-amdhsa--gfx906
amdhsa.version:
  - 1
  - 2
...

	.end_amdgpu_metadata
